;; amdgpu-corpus repo=ROCm/rocFFT kind=compiled arch=gfx1100 opt=O3
	.text
	.amdgcn_target "amdgcn-amd-amdhsa--gfx1100"
	.amdhsa_code_object_version 6
	.protected	fft_rtc_fwd_len792_factors_2_2_2_3_3_11_wgs_176_tpt_88_sp_op_CI_CI_sbrr_dirReg ; -- Begin function fft_rtc_fwd_len792_factors_2_2_2_3_3_11_wgs_176_tpt_88_sp_op_CI_CI_sbrr_dirReg
	.globl	fft_rtc_fwd_len792_factors_2_2_2_3_3_11_wgs_176_tpt_88_sp_op_CI_CI_sbrr_dirReg
	.p2align	8
	.type	fft_rtc_fwd_len792_factors_2_2_2_3_3_11_wgs_176_tpt_88_sp_op_CI_CI_sbrr_dirReg,@function
fft_rtc_fwd_len792_factors_2_2_2_3_3_11_wgs_176_tpt_88_sp_op_CI_CI_sbrr_dirReg: ; @fft_rtc_fwd_len792_factors_2_2_2_3_3_11_wgs_176_tpt_88_sp_op_CI_CI_sbrr_dirReg
; %bb.0:
	s_clause 0x2
	s_load_b128 s[16:19], s[0:1], 0x18
	s_load_b128 s[8:11], s[0:1], 0x0
	;; [unrolled: 1-line block ×3, first 2 shown]
	v_mul_u32_u24_e32 v1, 0x2e9, v0
	v_mov_b32_e32 v3, 0
	s_waitcnt lgkmcnt(0)
	s_load_b64 s[20:21], s[16:17], 0x0
	s_load_b64 s[12:13], s[18:19], 0x0
	v_lshrrev_b32_e32 v25, 16, v1
	v_cmp_lt_u64_e64 s2, s[10:11], 2
	v_mov_b32_e32 v1, 0
	v_mov_b32_e32 v2, 0
	;; [unrolled: 1-line block ×3, first 2 shown]
	v_lshl_add_u32 v5, s15, 1, v25
	s_and_b32 vcc_lo, exec_lo, s2
	s_cbranch_vccnz .LBB0_8
; %bb.1:
	s_load_b64 s[2:3], s[0:1], 0x10
	v_mov_b32_e32 v1, 0
	v_mov_b32_e32 v2, 0
	s_add_u32 s14, s18, 8
	s_addc_u32 s15, s19, 0
	s_add_u32 s22, s16, 8
	s_addc_u32 s23, s17, 0
	v_dual_mov_b32 v41, v2 :: v_dual_mov_b32 v40, v1
	s_mov_b64 s[26:27], 1
	s_waitcnt lgkmcnt(0)
	s_add_u32 s24, s2, 8
	s_addc_u32 s25, s3, 0
.LBB0_2:                                ; =>This Inner Loop Header: Depth=1
	s_load_b64 s[28:29], s[24:25], 0x0
                                        ; implicit-def: $vgpr42_vgpr43
	s_mov_b32 s2, exec_lo
	s_waitcnt lgkmcnt(0)
	v_or_b32_e32 v4, s29, v6
	s_delay_alu instid0(VALU_DEP_1)
	v_cmpx_ne_u64_e32 0, v[3:4]
	s_xor_b32 s3, exec_lo, s2
	s_cbranch_execz .LBB0_4
; %bb.3:                                ;   in Loop: Header=BB0_2 Depth=1
	v_cvt_f32_u32_e32 v4, s28
	v_cvt_f32_u32_e32 v7, s29
	s_sub_u32 s2, 0, s28
	s_subb_u32 s30, 0, s29
	s_delay_alu instid0(VALU_DEP_1) | instskip(NEXT) | instid1(VALU_DEP_1)
	v_fmac_f32_e32 v4, 0x4f800000, v7
	v_rcp_f32_e32 v4, v4
	s_waitcnt_depctr 0xfff
	v_mul_f32_e32 v4, 0x5f7ffffc, v4
	s_delay_alu instid0(VALU_DEP_1) | instskip(NEXT) | instid1(VALU_DEP_1)
	v_mul_f32_e32 v7, 0x2f800000, v4
	v_trunc_f32_e32 v7, v7
	s_delay_alu instid0(VALU_DEP_1) | instskip(SKIP_1) | instid1(VALU_DEP_2)
	v_fmac_f32_e32 v4, 0xcf800000, v7
	v_cvt_u32_f32_e32 v7, v7
	v_cvt_u32_f32_e32 v4, v4
	s_delay_alu instid0(VALU_DEP_2) | instskip(NEXT) | instid1(VALU_DEP_2)
	v_mul_lo_u32 v8, s2, v7
	v_mul_hi_u32 v9, s2, v4
	v_mul_lo_u32 v10, s30, v4
	s_delay_alu instid0(VALU_DEP_2) | instskip(SKIP_1) | instid1(VALU_DEP_2)
	v_add_nc_u32_e32 v8, v9, v8
	v_mul_lo_u32 v9, s2, v4
	v_add_nc_u32_e32 v8, v8, v10
	s_delay_alu instid0(VALU_DEP_2) | instskip(NEXT) | instid1(VALU_DEP_2)
	v_mul_hi_u32 v10, v4, v9
	v_mul_lo_u32 v11, v4, v8
	v_mul_hi_u32 v12, v4, v8
	v_mul_hi_u32 v13, v7, v9
	v_mul_lo_u32 v9, v7, v9
	v_mul_hi_u32 v14, v7, v8
	v_mul_lo_u32 v8, v7, v8
	v_add_co_u32 v10, vcc_lo, v10, v11
	v_add_co_ci_u32_e32 v11, vcc_lo, 0, v12, vcc_lo
	s_delay_alu instid0(VALU_DEP_2) | instskip(NEXT) | instid1(VALU_DEP_2)
	v_add_co_u32 v9, vcc_lo, v10, v9
	v_add_co_ci_u32_e32 v9, vcc_lo, v11, v13, vcc_lo
	v_add_co_ci_u32_e32 v10, vcc_lo, 0, v14, vcc_lo
	s_delay_alu instid0(VALU_DEP_2) | instskip(NEXT) | instid1(VALU_DEP_2)
	v_add_co_u32 v8, vcc_lo, v9, v8
	v_add_co_ci_u32_e32 v9, vcc_lo, 0, v10, vcc_lo
	s_delay_alu instid0(VALU_DEP_2) | instskip(NEXT) | instid1(VALU_DEP_2)
	v_add_co_u32 v4, vcc_lo, v4, v8
	v_add_co_ci_u32_e32 v7, vcc_lo, v7, v9, vcc_lo
	s_delay_alu instid0(VALU_DEP_2) | instskip(SKIP_1) | instid1(VALU_DEP_3)
	v_mul_hi_u32 v8, s2, v4
	v_mul_lo_u32 v10, s30, v4
	v_mul_lo_u32 v9, s2, v7
	s_delay_alu instid0(VALU_DEP_1) | instskip(SKIP_1) | instid1(VALU_DEP_2)
	v_add_nc_u32_e32 v8, v8, v9
	v_mul_lo_u32 v9, s2, v4
	v_add_nc_u32_e32 v8, v8, v10
	s_delay_alu instid0(VALU_DEP_2) | instskip(NEXT) | instid1(VALU_DEP_2)
	v_mul_hi_u32 v10, v4, v9
	v_mul_lo_u32 v11, v4, v8
	v_mul_hi_u32 v12, v4, v8
	v_mul_hi_u32 v13, v7, v9
	v_mul_lo_u32 v9, v7, v9
	v_mul_hi_u32 v14, v7, v8
	v_mul_lo_u32 v8, v7, v8
	v_add_co_u32 v10, vcc_lo, v10, v11
	v_add_co_ci_u32_e32 v11, vcc_lo, 0, v12, vcc_lo
	s_delay_alu instid0(VALU_DEP_2) | instskip(NEXT) | instid1(VALU_DEP_2)
	v_add_co_u32 v9, vcc_lo, v10, v9
	v_add_co_ci_u32_e32 v9, vcc_lo, v11, v13, vcc_lo
	v_add_co_ci_u32_e32 v10, vcc_lo, 0, v14, vcc_lo
	s_delay_alu instid0(VALU_DEP_2) | instskip(NEXT) | instid1(VALU_DEP_2)
	v_add_co_u32 v8, vcc_lo, v9, v8
	v_add_co_ci_u32_e32 v9, vcc_lo, 0, v10, vcc_lo
	s_delay_alu instid0(VALU_DEP_2) | instskip(NEXT) | instid1(VALU_DEP_2)
	v_add_co_u32 v4, vcc_lo, v4, v8
	v_add_co_ci_u32_e32 v13, vcc_lo, v7, v9, vcc_lo
	s_delay_alu instid0(VALU_DEP_2) | instskip(SKIP_1) | instid1(VALU_DEP_3)
	v_mul_hi_u32 v14, v5, v4
	v_mad_u64_u32 v[9:10], null, v6, v4, 0
	v_mad_u64_u32 v[7:8], null, v5, v13, 0
	;; [unrolled: 1-line block ×3, first 2 shown]
	s_delay_alu instid0(VALU_DEP_2) | instskip(NEXT) | instid1(VALU_DEP_3)
	v_add_co_u32 v4, vcc_lo, v14, v7
	v_add_co_ci_u32_e32 v7, vcc_lo, 0, v8, vcc_lo
	s_delay_alu instid0(VALU_DEP_2) | instskip(NEXT) | instid1(VALU_DEP_2)
	v_add_co_u32 v4, vcc_lo, v4, v9
	v_add_co_ci_u32_e32 v4, vcc_lo, v7, v10, vcc_lo
	v_add_co_ci_u32_e32 v7, vcc_lo, 0, v12, vcc_lo
	s_delay_alu instid0(VALU_DEP_2) | instskip(NEXT) | instid1(VALU_DEP_2)
	v_add_co_u32 v4, vcc_lo, v4, v11
	v_add_co_ci_u32_e32 v9, vcc_lo, 0, v7, vcc_lo
	s_delay_alu instid0(VALU_DEP_2) | instskip(SKIP_1) | instid1(VALU_DEP_3)
	v_mul_lo_u32 v10, s29, v4
	v_mad_u64_u32 v[7:8], null, s28, v4, 0
	v_mul_lo_u32 v11, s28, v9
	s_delay_alu instid0(VALU_DEP_2) | instskip(NEXT) | instid1(VALU_DEP_2)
	v_sub_co_u32 v7, vcc_lo, v5, v7
	v_add3_u32 v8, v8, v11, v10
	s_delay_alu instid0(VALU_DEP_1) | instskip(NEXT) | instid1(VALU_DEP_1)
	v_sub_nc_u32_e32 v10, v6, v8
	v_subrev_co_ci_u32_e64 v10, s2, s29, v10, vcc_lo
	v_add_co_u32 v11, s2, v4, 2
	s_delay_alu instid0(VALU_DEP_1) | instskip(SKIP_3) | instid1(VALU_DEP_3)
	v_add_co_ci_u32_e64 v12, s2, 0, v9, s2
	v_sub_co_u32 v13, s2, v7, s28
	v_sub_co_ci_u32_e32 v8, vcc_lo, v6, v8, vcc_lo
	v_subrev_co_ci_u32_e64 v10, s2, 0, v10, s2
	v_cmp_le_u32_e32 vcc_lo, s28, v13
	s_delay_alu instid0(VALU_DEP_3) | instskip(SKIP_1) | instid1(VALU_DEP_4)
	v_cmp_eq_u32_e64 s2, s29, v8
	v_cndmask_b32_e64 v13, 0, -1, vcc_lo
	v_cmp_le_u32_e32 vcc_lo, s29, v10
	v_cndmask_b32_e64 v14, 0, -1, vcc_lo
	v_cmp_le_u32_e32 vcc_lo, s28, v7
	;; [unrolled: 2-line block ×3, first 2 shown]
	v_cndmask_b32_e64 v15, 0, -1, vcc_lo
	v_cmp_eq_u32_e32 vcc_lo, s29, v10
	s_delay_alu instid0(VALU_DEP_2) | instskip(SKIP_3) | instid1(VALU_DEP_3)
	v_cndmask_b32_e64 v7, v15, v7, s2
	v_cndmask_b32_e32 v10, v14, v13, vcc_lo
	v_add_co_u32 v13, vcc_lo, v4, 1
	v_add_co_ci_u32_e32 v14, vcc_lo, 0, v9, vcc_lo
	v_cmp_ne_u32_e32 vcc_lo, 0, v10
	s_delay_alu instid0(VALU_DEP_2) | instskip(NEXT) | instid1(VALU_DEP_4)
	v_cndmask_b32_e32 v8, v14, v12, vcc_lo
	v_cndmask_b32_e32 v10, v13, v11, vcc_lo
	v_cmp_ne_u32_e32 vcc_lo, 0, v7
	s_delay_alu instid0(VALU_DEP_2)
	v_dual_cndmask_b32 v43, v9, v8 :: v_dual_cndmask_b32 v42, v4, v10
.LBB0_4:                                ;   in Loop: Header=BB0_2 Depth=1
	s_and_not1_saveexec_b32 s2, s3
	s_cbranch_execz .LBB0_6
; %bb.5:                                ;   in Loop: Header=BB0_2 Depth=1
	v_cvt_f32_u32_e32 v4, s28
	s_sub_i32 s3, 0, s28
	v_mov_b32_e32 v43, v3
	s_delay_alu instid0(VALU_DEP_2) | instskip(SKIP_2) | instid1(VALU_DEP_1)
	v_rcp_iflag_f32_e32 v4, v4
	s_waitcnt_depctr 0xfff
	v_mul_f32_e32 v4, 0x4f7ffffe, v4
	v_cvt_u32_f32_e32 v4, v4
	s_delay_alu instid0(VALU_DEP_1) | instskip(NEXT) | instid1(VALU_DEP_1)
	v_mul_lo_u32 v7, s3, v4
	v_mul_hi_u32 v7, v4, v7
	s_delay_alu instid0(VALU_DEP_1) | instskip(NEXT) | instid1(VALU_DEP_1)
	v_add_nc_u32_e32 v4, v4, v7
	v_mul_hi_u32 v4, v5, v4
	s_delay_alu instid0(VALU_DEP_1) | instskip(SKIP_1) | instid1(VALU_DEP_2)
	v_mul_lo_u32 v7, v4, s28
	v_add_nc_u32_e32 v8, 1, v4
	v_sub_nc_u32_e32 v7, v5, v7
	s_delay_alu instid0(VALU_DEP_1) | instskip(SKIP_1) | instid1(VALU_DEP_2)
	v_subrev_nc_u32_e32 v9, s28, v7
	v_cmp_le_u32_e32 vcc_lo, s28, v7
	v_dual_cndmask_b32 v7, v7, v9 :: v_dual_cndmask_b32 v4, v4, v8
	s_delay_alu instid0(VALU_DEP_1) | instskip(NEXT) | instid1(VALU_DEP_2)
	v_cmp_le_u32_e32 vcc_lo, s28, v7
	v_add_nc_u32_e32 v8, 1, v4
	s_delay_alu instid0(VALU_DEP_1)
	v_cndmask_b32_e32 v42, v4, v8, vcc_lo
.LBB0_6:                                ;   in Loop: Header=BB0_2 Depth=1
	s_or_b32 exec_lo, exec_lo, s2
	s_delay_alu instid0(VALU_DEP_1) | instskip(NEXT) | instid1(VALU_DEP_2)
	v_mul_lo_u32 v4, v43, s28
	v_mul_lo_u32 v9, v42, s29
	s_load_b64 s[2:3], s[22:23], 0x0
	v_mad_u64_u32 v[7:8], null, v42, s28, 0
	s_load_b64 s[28:29], s[14:15], 0x0
	s_add_u32 s26, s26, 1
	s_addc_u32 s27, s27, 0
	s_add_u32 s14, s14, 8
	s_addc_u32 s15, s15, 0
	s_add_u32 s22, s22, 8
	s_delay_alu instid0(VALU_DEP_1) | instskip(SKIP_3) | instid1(VALU_DEP_2)
	v_add3_u32 v4, v8, v9, v4
	v_sub_co_u32 v8, vcc_lo, v5, v7
	s_addc_u32 s23, s23, 0
	s_add_u32 s24, s24, 8
	v_sub_co_ci_u32_e32 v6, vcc_lo, v6, v4, vcc_lo
	s_addc_u32 s25, s25, 0
	s_waitcnt lgkmcnt(0)
	s_delay_alu instid0(VALU_DEP_1)
	v_mul_lo_u32 v9, s2, v6
	v_mul_lo_u32 v10, s3, v8
	v_mad_u64_u32 v[4:5], null, s2, v8, v[1:2]
	v_mul_lo_u32 v11, s28, v6
	v_mul_lo_u32 v12, s29, v8
	v_mad_u64_u32 v[6:7], null, s28, v8, v[40:41]
	v_cmp_ge_u64_e64 s2, s[26:27], s[10:11]
	v_add3_u32 v2, v10, v5, v9
	s_delay_alu instid0(VALU_DEP_3) | instskip(NEXT) | instid1(VALU_DEP_4)
	v_dual_mov_b32 v1, v4 :: v_dual_mov_b32 v40, v6
	v_add3_u32 v41, v12, v7, v11
	s_delay_alu instid0(VALU_DEP_4)
	s_and_b32 vcc_lo, exec_lo, s2
	s_cbranch_vccnz .LBB0_9
; %bb.7:                                ;   in Loop: Header=BB0_2 Depth=1
	v_dual_mov_b32 v5, v42 :: v_dual_mov_b32 v6, v43
	s_branch .LBB0_2
.LBB0_8:
	v_dual_mov_b32 v41, v2 :: v_dual_mov_b32 v40, v1
	s_delay_alu instid0(VALU_DEP_2)
	v_dual_mov_b32 v43, v6 :: v_dual_mov_b32 v42, v5
.LBB0_9:
	s_load_b64 s[0:1], s[0:1], 0x28
	v_mul_hi_u32 v5, 0x2e8ba2f, v0
	s_lshl_b64 s[10:11], s[10:11], 3
                                        ; implicit-def: $sgpr14
                                        ; implicit-def: $vgpr48
                                        ; implicit-def: $vgpr23
                                        ; implicit-def: $vgpr24
                                        ; implicit-def: $vgpr28
	s_delay_alu instid0(SALU_CYCLE_1) | instskip(SKIP_4) | instid1(VALU_DEP_1)
	s_add_u32 s2, s18, s10
	s_addc_u32 s3, s19, s11
	s_waitcnt lgkmcnt(0)
	v_cmp_gt_u64_e32 vcc_lo, s[0:1], v[42:43]
	v_cmp_le_u64_e64 s0, s[0:1], v[42:43]
	s_and_saveexec_b32 s1, s0
	s_delay_alu instid0(SALU_CYCLE_1)
	s_xor_b32 s0, exec_lo, s1
; %bb.10:
	v_mul_u32_u24_e32 v1, 0x58, v5
	s_mov_b32 s14, 0
                                        ; implicit-def: $vgpr5
	s_delay_alu instid0(VALU_DEP_1) | instskip(NEXT) | instid1(VALU_DEP_1)
	v_sub_nc_u32_e32 v48, v0, v1
                                        ; implicit-def: $vgpr0
                                        ; implicit-def: $vgpr1_vgpr2
	v_add_nc_u32_e32 v23, 0x58, v48
	v_add_nc_u32_e32 v24, 0xb0, v48
	v_add_nc_u32_e32 v28, 0x108, v48
; %bb.11:
	s_or_saveexec_b32 s1, s0
	s_load_b64 s[2:3], s[2:3], 0x0
	v_dual_mov_b32 v4, s14 :: v_dual_mov_b32 v3, s14
                                        ; implicit-def: $vgpr10
                                        ; implicit-def: $vgpr20
                                        ; implicit-def: $vgpr12
                                        ; implicit-def: $vgpr16
                                        ; implicit-def: $vgpr6
                                        ; implicit-def: $vgpr14
                                        ; implicit-def: $vgpr8
                                        ; implicit-def: $vgpr22
                                        ; implicit-def: $vgpr18
	s_xor_b32 exec_lo, exec_lo, s1
	s_cbranch_execz .LBB0_15
; %bb.12:
	s_add_u32 s10, s16, s10
	s_addc_u32 s11, s17, s11
	v_mul_u32_u24_e32 v3, 0x58, v5
	s_load_b64 s[10:11], s[10:11], 0x0
	s_delay_alu instid0(VALU_DEP_1) | instskip(SKIP_1) | instid1(VALU_DEP_2)
	v_sub_nc_u32_e32 v48, v0, v3
	v_lshlrev_b64 v[0:1], 3, v[1:2]
	v_mad_u64_u32 v[3:4], null, s20, v48, 0
	v_add_nc_u32_e32 v16, 0x18c, v48
	v_add_nc_u32_e32 v23, 0x58, v48
	;; [unrolled: 1-line block ×5, first 2 shown]
	v_mad_u64_u32 v[5:6], null, s20, v16, 0
	v_mov_b32_e32 v2, v4
	v_mad_u64_u32 v[7:8], null, s20, v23, 0
	s_waitcnt lgkmcnt(0)
	v_mul_lo_u32 v4, s11, v42
	v_mul_lo_u32 v14, s10, v43
	v_mad_u64_u32 v[9:10], null, s10, v42, 0
	v_mad_u64_u32 v[11:12], null, s21, v48, v[2:3]
	v_dual_mov_b32 v2, v6 :: v_dual_add_nc_u32 v17, 0x1e4, v48
	v_mov_b32_e32 v6, v8
	v_add_nc_u32_e32 v26, 0x294, v48
	v_add3_u32 v10, v10, v14, v4
	s_delay_alu instid0(VALU_DEP_4) | instskip(SKIP_2) | instid1(VALU_DEP_4)
	v_mad_u64_u32 v[12:13], null, s20, v17, 0
	v_mov_b32_e32 v4, v11
	v_mad_u64_u32 v[14:15], null, s21, v16, v[2:3]
	v_lshlrev_b64 v[8:9], 3, v[9:10]
	v_mad_u64_u32 v[10:11], null, s21, v23, v[6:7]
	s_delay_alu instid0(VALU_DEP_4) | instskip(SKIP_1) | instid1(VALU_DEP_4)
	v_lshlrev_b64 v[3:4], 3, v[3:4]
	v_mov_b32_e32 v2, v13
	v_add_co_u32 v11, s0, s4, v8
	s_delay_alu instid0(VALU_DEP_1) | instskip(SKIP_1) | instid1(VALU_DEP_3)
	v_add_co_ci_u32_e64 v9, s0, s5, v9, s0
	v_mov_b32_e32 v8, v10
	v_add_co_u32 v0, s0, v11, v0
	s_delay_alu instid0(VALU_DEP_1) | instskip(SKIP_1) | instid1(VALU_DEP_3)
	v_add_co_ci_u32_e64 v1, s0, v9, v1, s0
	v_mad_u64_u32 v[9:10], null, s20, v24, 0
	v_add_co_u32 v3, s0, v0, v3
	v_mov_b32_e32 v6, v14
	v_lshlrev_b64 v[7:8], 3, v[7:8]
	v_add_co_ci_u32_e64 v4, s0, v1, v4, s0
	s_delay_alu instid0(VALU_DEP_4)
	v_mad_u64_u32 v[13:14], null, s21, v17, v[2:3]
	v_mad_u64_u32 v[14:15], null, s20, v20, 0
	v_mov_b32_e32 v2, v10
	v_mad_u64_u32 v[16:17], null, s20, v28, 0
	v_lshlrev_b64 v[5:6], 3, v[5:6]
	s_mov_b32 s4, exec_lo
	s_delay_alu instid0(VALU_DEP_3) | instskip(SKIP_2) | instid1(VALU_DEP_4)
	v_mad_u64_u32 v[10:11], null, s21, v24, v[2:3]
	v_mov_b32_e32 v2, v15
	v_lshlrev_b64 v[11:12], 3, v[12:13]
	v_add_co_u32 v5, s0, v0, v5
	s_delay_alu instid0(VALU_DEP_1) | instskip(NEXT) | instid1(VALU_DEP_4)
	v_add_co_ci_u32_e64 v6, s0, v1, v6, s0
	v_mad_u64_u32 v[18:19], null, s21, v20, v[2:3]
	v_mad_u64_u32 v[19:20], null, s20, v26, 0
	v_mov_b32_e32 v2, v17
	v_add_co_u32 v7, s0, v0, v7
	s_delay_alu instid0(VALU_DEP_1) | instskip(SKIP_1) | instid1(VALU_DEP_4)
	v_add_co_ci_u32_e64 v8, s0, v1, v8, s0
	v_mov_b32_e32 v15, v18
	v_mad_u64_u32 v[17:18], null, s21, v28, v[2:3]
	v_mov_b32_e32 v2, v20
	v_add_co_u32 v21, s0, v0, v11
	s_delay_alu instid0(VALU_DEP_1) | instskip(NEXT) | instid1(VALU_DEP_3)
	v_add_co_ci_u32_e64 v22, s0, v1, v12, s0
	v_mad_u64_u32 v[11:12], null, s21, v26, v[2:3]
	v_lshlrev_b64 v[9:10], 3, v[9:10]
	v_lshlrev_b64 v[12:13], 3, v[14:15]
	s_delay_alu instid0(VALU_DEP_2) | instskip(NEXT) | instid1(VALU_DEP_4)
	v_add_co_u32 v26, s0, v0, v9
	v_mov_b32_e32 v20, v11
	s_delay_alu instid0(VALU_DEP_4) | instskip(SKIP_2) | instid1(VALU_DEP_4)
	v_add_co_ci_u32_e64 v27, s0, v1, v10, s0
	v_lshlrev_b64 v[9:10], 3, v[16:17]
	v_add_co_u32 v17, s0, v0, v12
	v_lshlrev_b64 v[11:12], 3, v[19:20]
	v_add_co_ci_u32_e64 v18, s0, v1, v13, s0
	s_delay_alu instid0(VALU_DEP_4) | instskip(NEXT) | instid1(VALU_DEP_1)
	v_add_co_u32 v29, s0, v0, v9
	v_add_co_ci_u32_e64 v30, s0, v1, v10, s0
	s_delay_alu instid0(VALU_DEP_4) | instskip(NEXT) | instid1(VALU_DEP_1)
	v_add_co_u32 v31, s0, v0, v11
	v_add_co_ci_u32_e64 v32, s0, v1, v12, s0
	s_clause 0x7
	global_load_b64 v[9:10], v[3:4], off
	global_load_b64 v[19:20], v[5:6], off
	;; [unrolled: 1-line block ×8, first 2 shown]
	v_dual_mov_b32 v3, 0 :: v_dual_mov_b32 v4, 0
                                        ; implicit-def: $vgpr21
	v_cmpx_gt_u32_e32 44, v48
	s_cbranch_execz .LBB0_14
; %bb.13:
	v_add_nc_u32_e32 v31, 0x2ec, v48
	s_delay_alu instid0(VALU_DEP_1) | instskip(NEXT) | instid1(VALU_DEP_1)
	v_mad_u64_u32 v[21:22], null, s20, v31, 0
	v_dual_mov_b32 v4, v22 :: v_dual_add_nc_u32 v29, 0x160, v48
	s_delay_alu instid0(VALU_DEP_1) | instskip(NEXT) | instid1(VALU_DEP_1)
	v_mad_u64_u32 v[2:3], null, s20, v29, 0
	v_mad_u64_u32 v[26:27], null, s21, v29, v[3:4]
	s_waitcnt vmcnt(3)
	v_mad_u64_u32 v[29:30], null, s21, v31, v[4:5]
	s_delay_alu instid0(VALU_DEP_1) | instskip(NEXT) | instid1(VALU_DEP_1)
	v_dual_mov_b32 v3, v26 :: v_dual_mov_b32 v22, v29
	v_lshlrev_b64 v[2:3], 3, v[2:3]
	s_delay_alu instid0(VALU_DEP_2) | instskip(NEXT) | instid1(VALU_DEP_2)
	v_lshlrev_b64 v[21:22], 3, v[21:22]
	v_add_co_u32 v2, s0, v0, v2
	s_delay_alu instid0(VALU_DEP_1) | instskip(NEXT) | instid1(VALU_DEP_3)
	v_add_co_ci_u32_e64 v3, s0, v1, v3, s0
	v_add_co_u32 v0, s0, v0, v21
	s_delay_alu instid0(VALU_DEP_1)
	v_add_co_ci_u32_e64 v1, s0, v1, v22, s0
	s_clause 0x1
	global_load_b64 v[3:4], v[2:3], off
	global_load_b64 v[21:22], v[0:1], off
.LBB0_14:
	s_or_b32 exec_lo, exec_lo, s4
.LBB0_15:
	s_delay_alu instid0(SALU_CYCLE_1)
	s_or_b32 exec_lo, exec_lo, s1
	s_waitcnt vmcnt(6)
	v_dual_sub_f32 v19, v9, v19 :: v_dual_and_b32 v0, 1, v25
	s_waitcnt vmcnt(4)
	v_dual_sub_f32 v20, v10, v20 :: v_dual_sub_f32 v15, v11, v15
	s_waitcnt vmcnt(0)
	v_sub_f32_e32 v18, v8, v18
	v_cmp_eq_u32_e64 s0, 1, v0
	v_dual_sub_f32 v16, v12, v16 :: v_dual_sub_f32 v13, v5, v13
	v_fma_f32 v26, v10, 2.0, -v20
	v_sub_f32_e32 v10, v3, v21
	s_delay_alu instid0(VALU_DEP_4)
	v_cndmask_b32_e64 v0, 0, 0x318, s0
	v_fma_f32 v29, v11, 2.0, -v15
	v_sub_f32_e32 v11, v4, v22
	v_fma_f32 v34, v8, 2.0, -v18
	v_fma_f32 v8, v3, 2.0, -v10
	v_lshl_add_u32 v3, v48, 4, 0
	v_lshlrev_b32_e32 v22, 3, v0
	v_dual_sub_f32 v14, v6, v14 :: v_dual_sub_f32 v17, v7, v17
	v_lshl_add_u32 v0, v23, 4, 0
	v_lshl_add_u32 v1, v24, 4, 0
	;; [unrolled: 1-line block ×3, first 2 shown]
	v_fma_f32 v25, v9, 2.0, -v19
	v_fma_f32 v9, v4, 2.0, -v11
	v_add_nc_u32_e32 v4, v3, v22
	v_add_nc_u32_e32 v32, 0x160, v48
	v_cmp_gt_u32_e64 s0, 44, v48
	v_fma_f32 v30, v12, 2.0, -v16
	v_fma_f32 v33, v7, 2.0, -v17
	v_add_nc_u32_e32 v7, v0, v22
	v_fma_f32 v5, v5, 2.0, -v13
	v_fma_f32 v6, v6, 2.0, -v14
	v_add_nc_u32_e32 v12, v1, v22
	v_add_nc_u32_e32 v21, v2, v22
	ds_store_2addr_b64 v4, v[25:26], v[19:20] offset1:1
	ds_store_2addr_b64 v7, v[29:30], v[15:16] offset1:1
	;; [unrolled: 1-line block ×4, first 2 shown]
	s_and_saveexec_b32 s1, s0
	s_cbranch_execz .LBB0_17
; %bb.16:
	v_lshlrev_b32_e32 v4, 4, v32
	s_delay_alu instid0(VALU_DEP_1)
	v_add3_u32 v4, 0, v4, v22
	ds_store_2addr_b64 v4, v[8:9], v[10:11] offset1:1
.LBB0_17:
	s_or_b32 exec_lo, exec_lo, s1
	v_lshlrev_b32_e32 v4, 3, v48
	v_lshlrev_b32_e32 v5, 3, v23
	;; [unrolled: 1-line block ×4, first 2 shown]
	s_waitcnt lgkmcnt(0)
	v_sub_nc_u32_e32 v3, v3, v4
	v_sub_nc_u32_e32 v0, v0, v5
	;; [unrolled: 1-line block ×4, first 2 shown]
	v_add3_u32 v21, 0, v22, v4
	v_add_nc_u32_e32 v20, v3, v22
	v_add_nc_u32_e32 v25, v0, v22
	;; [unrolled: 1-line block ×3, first 2 shown]
	s_barrier
	buffer_gl0_inv
	v_add_nc_u32_e32 v3, 0x800, v20
	v_add_nc_u32_e32 v12, 0x1000, v20
	;; [unrolled: 1-line block ×3, first 2 shown]
	v_lshlrev_b32_e32 v31, 1, v48
	v_lshlrev_b32_e32 v30, 1, v23
	ds_load_2addr_b64 v[4:7], v3 offset0:140 offset1:228
	ds_load_2addr_b64 v[0:3], v12 offset0:60 offset1:148
	ds_load_b64 v[18:19], v21
	ds_load_b64 v[16:17], v25
	ds_load_b64 v[14:15], v26
	ds_load_b64 v[12:13], v27
	v_lshlrev_b32_e32 v29, 1, v24
	v_lshlrev_b32_e32 v28, 1, v28
	s_and_saveexec_b32 s1, s0
	s_cbranch_execz .LBB0_19
; %bb.18:
	ds_load_b64 v[8:9], v20 offset:2816
	ds_load_b64 v[10:11], v20 offset:5984
.LBB0_19:
	s_or_b32 exec_lo, exec_lo, s1
	v_and_b32_e32 v33, 1, v48
	s_delay_alu instid0(VALU_DEP_1)
	v_lshlrev_b32_e32 v34, 3, v33
	global_load_b64 v[34:35], v34, s[8:9]
	v_lshlrev_b32_e32 v32, 1, v32
	s_waitcnt vmcnt(0) lgkmcnt(0)
	s_barrier
	buffer_gl0_inv
	v_mul_f32_e32 v47, v35, v6
	v_mul_f32_e32 v44, v35, v5
	v_and_or_b32 v36, 0xfc, v31, v33
	v_and_or_b32 v37, 0x1fc, v30, v33
	v_and_or_b32 v38, 0x3fc, v29, v33
	v_and_or_b32 v39, 0x3fc, v28, v33
	v_mul_f32_e32 v45, v35, v4
	v_dual_mul_f32 v49, v35, v1 :: v_dual_lshlrev_b32 v36, 3, v36
	v_dual_mul_f32 v46, v35, v7 :: v_dual_lshlrev_b32 v37, 3, v37
	;; [unrolled: 1-line block ×4, first 2 shown]
	v_mul_f32_e32 v52, v35, v2
	v_mul_f32_e32 v53, v11, v35
	;; [unrolled: 1-line block ×3, first 2 shown]
	v_fma_f32 v4, v34, v4, -v44
	v_fmac_f32_e32 v50, v34, v1
	v_fmac_f32_e32 v47, v34, v7
	v_fma_f32 v7, v34, v2, -v51
	v_fmac_f32_e32 v45, v34, v5
	v_fma_f32 v5, v34, v6, -v46
	v_fma_f32 v6, v34, v0, -v49
	v_dual_fmac_f32 v52, v34, v3 :: v_dual_fmac_f32 v35, v11, v34
	v_fma_f32 v10, v10, v34, -v53
	v_sub_f32_e32 v0, v18, v4
	v_dual_sub_f32 v2, v16, v5 :: v_dual_sub_f32 v3, v17, v47
	v_sub_f32_e32 v4, v14, v6
	v_dual_sub_f32 v6, v12, v7 :: v_dual_sub_f32 v1, v19, v45
	v_dual_sub_f32 v7, v13, v52 :: v_dual_sub_f32 v10, v8, v10
	v_sub_f32_e32 v11, v9, v35
	v_sub_f32_e32 v5, v15, v50
	v_add3_u32 v36, 0, v36, v22
	v_fma_f32 v18, v18, 2.0, -v0
	v_fma_f32 v19, v19, 2.0, -v1
	;; [unrolled: 1-line block ×4, first 2 shown]
	v_add3_u32 v37, 0, v37, v22
	v_fma_f32 v16, v16, 2.0, -v2
	v_fma_f32 v17, v17, 2.0, -v3
	v_add3_u32 v38, 0, v38, v22
	v_fma_f32 v14, v14, 2.0, -v4
	v_fma_f32 v15, v15, 2.0, -v5
	;; [unrolled: 3-line block ×3, first 2 shown]
	ds_store_2addr_b64 v36, v[18:19], v[0:1] offset1:2
	ds_store_2addr_b64 v37, v[16:17], v[2:3] offset1:2
	;; [unrolled: 1-line block ×4, first 2 shown]
	s_and_saveexec_b32 s1, s0
	s_cbranch_execz .LBB0_21
; %bb.20:
	v_and_or_b32 v0, 0x3fc, v32, v33
	s_delay_alu instid0(VALU_DEP_1) | instskip(NEXT) | instid1(VALU_DEP_1)
	v_lshlrev_b32_e32 v0, 3, v0
	v_add3_u32 v0, 0, v0, v22
	ds_store_2addr_b64 v0, v[8:9], v[10:11] offset1:2
.LBB0_21:
	s_or_b32 exec_lo, exec_lo, s1
	v_add_nc_u32_e32 v0, 0x800, v20
	v_add_nc_u32_e32 v1, 0x1000, v20
	s_waitcnt lgkmcnt(0)
	s_barrier
	buffer_gl0_inv
	ds_load_2addr_b64 v[4:7], v0 offset0:140 offset1:228
	ds_load_2addr_b64 v[0:3], v1 offset0:60 offset1:148
	ds_load_b64 v[18:19], v21
	ds_load_b64 v[14:15], v25
	;; [unrolled: 1-line block ×4, first 2 shown]
	s_and_saveexec_b32 s1, s0
	s_cbranch_execz .LBB0_23
; %bb.22:
	ds_load_b64 v[8:9], v20 offset:2816
	ds_load_b64 v[10:11], v20 offset:5984
.LBB0_23:
	s_or_b32 exec_lo, exec_lo, s1
	v_and_b32_e32 v33, 3, v48
	s_delay_alu instid0(VALU_DEP_1)
	v_lshlrev_b32_e32 v34, 3, v33
	global_load_b64 v[34:35], v34, s[8:9] offset:16
	s_waitcnt vmcnt(0) lgkmcnt(0)
	s_barrier
	buffer_gl0_inv
	v_mul_f32_e32 v37, v35, v4
	v_mul_f32_e32 v36, v35, v5
	v_and_or_b32 v29, 0x3f8, v29, v33
	v_and_or_b32 v31, 0xf8, v31, v33
	;; [unrolled: 1-line block ×4, first 2 shown]
	s_delay_alu instid0(VALU_DEP_4) | instskip(NEXT) | instid1(VALU_DEP_4)
	v_dual_mul_f32 v38, v35, v7 :: v_dual_lshlrev_b32 v29, 3, v29
	v_dual_mul_f32 v44, v35, v1 :: v_dual_lshlrev_b32 v31, 3, v31
	s_delay_alu instid0(VALU_DEP_4) | instskip(NEXT) | instid1(VALU_DEP_4)
	v_dual_mul_f32 v45, v35, v0 :: v_dual_lshlrev_b32 v30, 3, v30
	v_dual_mul_f32 v39, v35, v6 :: v_dual_lshlrev_b32 v28, 3, v28
	v_dual_mul_f32 v46, v35, v3 :: v_dual_fmac_f32 v37, v34, v5
	v_fma_f32 v4, v34, v4, -v36
	v_fma_f32 v5, v34, v6, -v38
	v_mul_f32_e32 v49, v11, v35
	v_mul_f32_e32 v47, v35, v2
	v_fma_f32 v0, v34, v0, -v44
	v_mul_f32_e32 v35, v10, v35
	v_fmac_f32_e32 v45, v34, v1
	v_fma_f32 v1, v34, v2, -v46
	v_fmac_f32_e32 v39, v34, v7
	v_sub_f32_e32 v2, v18, v4
	v_sub_f32_e32 v4, v14, v5
	v_fma_f32 v36, v10, v34, -v49
	v_dual_sub_f32 v10, v16, v1 :: v_dual_fmac_f32 v47, v34, v3
	v_dual_sub_f32 v3, v19, v37 :: v_dual_sub_f32 v6, v12, v0
	v_fmac_f32_e32 v35, v11, v34
	s_delay_alu instid0(VALU_DEP_4)
	v_dual_sub_f32 v5, v15, v39 :: v_dual_sub_f32 v0, v8, v36
	v_sub_f32_e32 v7, v13, v45
	v_sub_f32_e32 v11, v17, v47
	v_add3_u32 v31, 0, v31, v22
	v_fma_f32 v18, v18, 2.0, -v2
	v_fma_f32 v19, v19, 2.0, -v3
	v_sub_f32_e32 v1, v9, v35
	v_add3_u32 v30, 0, v30, v22
	v_fma_f32 v14, v14, 2.0, -v4
	v_fma_f32 v15, v15, 2.0, -v5
	v_add3_u32 v29, 0, v29, v22
	v_fma_f32 v12, v12, 2.0, -v6
	v_fma_f32 v13, v13, 2.0, -v7
	;; [unrolled: 3-line block ×3, first 2 shown]
	ds_store_2addr_b64 v31, v[18:19], v[2:3] offset1:4
	ds_store_2addr_b64 v30, v[14:15], v[4:5] offset1:4
	;; [unrolled: 1-line block ×4, first 2 shown]
	s_and_saveexec_b32 s1, s0
	s_cbranch_execz .LBB0_25
; %bb.24:
	v_and_or_b32 v2, 0x3f8, v32, v33
	v_fma_f32 v3, v9, 2.0, -v1
	s_delay_alu instid0(VALU_DEP_2) | instskip(SKIP_1) | instid1(VALU_DEP_2)
	v_lshlrev_b32_e32 v4, 3, v2
	v_fma_f32 v2, v8, 2.0, -v0
	v_add3_u32 v4, 0, v4, v22
	ds_store_2addr_b64 v4, v[2:3], v[0:1] offset1:4
.LBB0_25:
	s_or_b32 exec_lo, exec_lo, s1
	v_and_b32_e32 v34, 7, v48
	s_waitcnt lgkmcnt(0)
	s_barrier
	buffer_gl0_inv
	v_lshrrev_b32_e32 v36, 3, v23
	v_lshlrev_b32_e32 v2, 4, v34
	v_lshrrev_b32_e32 v37, 3, v24
	v_lshrrev_b32_e32 v35, 3, v48
	v_cmp_gt_u32_e64 s0, 0x48, v48
	v_mul_lo_u32 v36, v36, 24
	global_load_b128 v[4:7], v2, s[8:9] offset:48
	ds_load_b64 v[16:17], v21
	ds_load_b64 v[18:19], v27
	v_add_nc_u32_e32 v2, 0x1000, v20
	v_add_nc_u32_e32 v3, 0x800, v20
	ds_load_b64 v[28:29], v26
	ds_load_b64 v[30:31], v25
	ds_load_b64 v[32:33], v20 offset:5632
	v_mul_lo_u32 v37, v37, 24
	v_mul_u32_u24_e32 v35, 24, v35
	s_waitcnt vmcnt(0) lgkmcnt(3)
	v_mul_f32_e32 v49, v5, v18
	ds_load_2addr_b64 v[8:11], v2 offset0:16 offset1:104
	ds_load_2addr_b64 v[12:15], v3 offset0:96 offset1:184
	v_and_b32_e32 v38, 0xff, v48
	v_and_b32_e32 v39, 0xff, v23
	v_dual_mul_f32 v47, v5, v19 :: v_dual_and_b32 v44, 0xffff, v24
	v_or_b32_e32 v35, v35, v34
	v_or_b32_e32 v36, v36, v34
	;; [unrolled: 1-line block ×3, first 2 shown]
	s_waitcnt lgkmcnt(2)
	v_mul_f32_e32 v57, v7, v33
	v_dual_mul_f32 v58, v7, v32 :: v_dual_lshlrev_b32 v35, 3, v35
	v_lshlrev_b32_e32 v36, 3, v36
	v_lshlrev_b32_e32 v34, 3, v34
	s_waitcnt lgkmcnt(0)
	s_barrier
	v_add3_u32 v35, 0, v35, v22
	v_add3_u32 v36, 0, v36, v22
	buffer_gl0_inv
	v_fmac_f32_e32 v49, v4, v19
	v_mul_f32_e32 v55, v7, v10
	v_mul_f32_e32 v53, v5, v12
	v_mul_lo_u16 v38, 0xab, v38
	v_mul_f32_e32 v52, v5, v13
	v_mul_lo_u16 v39, 0xab, v39
	v_dual_mul_f32 v51, v7, v8 :: v_dual_mul_f32 v56, v5, v15
	v_mul_f32_e32 v15, v4, v15
	v_mul_u32_u24_e32 v44, 0xaaab, v44
	v_lshrrev_b16 v38, 12, v38
	s_delay_alu instid0(VALU_DEP_4)
	v_fmac_f32_e32 v51, v6, v9
	v_lshrrev_b16 v39, 12, v39
	v_mul_f32_e32 v50, v7, v9
	v_lshrrev_b32_e32 v44, 20, v44
	v_mul_lo_u16 v37, v38, 24
	v_mul_f32_e32 v54, v7, v11
	v_mul_lo_u16 v45, v39, 24
	v_fma_f32 v7, v4, v18, -v47
	v_mul_lo_u16 v46, v44, 24
	v_sub_nc_u16 v37, v48, v37
	v_fma_f32 v8, v6, v8, -v50
	v_sub_nc_u16 v23, v23, v45
	v_fma_f32 v9, v4, v12, -v52
	v_sub_nc_u16 v24, v24, v46
	v_and_b32_e32 v45, 0xff, v37
	v_dual_fmac_f32 v53, v4, v13 :: v_dual_sub_f32 v12, v49, v51
	v_dual_fmac_f32 v58, v6, v33 :: v_dual_and_b32 v23, 0xff, v23
	s_delay_alu instid0(VALU_DEP_4) | instskip(NEXT) | instid1(VALU_DEP_4)
	v_and_b32_e32 v46, 0xffff, v24
	v_dual_fmac_f32 v55, v6, v11 :: v_dual_lshlrev_b32 v24, 4, v45
	v_fma_f32 v10, v6, v10, -v54
	v_fma_f32 v4, v4, v14, -v56
	;; [unrolled: 1-line block ×3, first 2 shown]
	v_dual_add_f32 v6, v7, v8 :: v_dual_lshlrev_b32 v37, 4, v23
	v_dual_fmac_f32 v15, v5, v14 :: v_dual_sub_f32 v18, v7, v8
	v_add_f32_e32 v14, v49, v51
	v_add_f32_e32 v5, v16, v7
	v_dual_add_f32 v13, v17, v49 :: v_dual_add_f32 v50, v4, v11
	v_add_f32_e32 v7, v30, v9
	v_dual_add_f32 v19, v9, v10 :: v_dual_sub_f32 v54, v4, v11
	v_add_f32_e32 v47, v53, v55
	v_dual_sub_f32 v32, v53, v55 :: v_dual_add_f32 v33, v31, v53
	v_sub_f32_e32 v52, v15, v58
	v_fma_f32 v16, -0.5, v6, v16
	v_add_f32_e32 v53, v29, v15
	v_add_f32_e32 v15, v15, v58
	v_sub_f32_e32 v49, v9, v10
	v_add_f32_e32 v9, v28, v4
	v_fmac_f32_e32 v17, -0.5, v14
	v_add_f32_e32 v6, v7, v10
	v_fma_f32 v30, -0.5, v19, v30
	v_fma_f32 v28, -0.5, v50, v28
	v_dual_fmac_f32 v31, -0.5, v47 :: v_dual_add_f32 v4, v5, v8
	v_fmac_f32_e32 v29, -0.5, v15
	v_add_f32_e32 v5, v13, v51
	v_add_f32_e32 v8, v9, v11
	v_fmamk_f32 v10, v12, 0x3f5db3d7, v16
	v_dual_fmamk_f32 v11, v18, 0xbf5db3d7, v17 :: v_dual_fmac_f32 v16, 0xbf5db3d7, v12
	v_fmac_f32_e32 v17, 0x3f5db3d7, v18
	v_dual_add_f32 v7, v33, v55 :: v_dual_fmamk_f32 v12, v32, 0x3f5db3d7, v30
	v_fmac_f32_e32 v30, 0xbf5db3d7, v32
	v_fmamk_f32 v14, v52, 0x3f5db3d7, v28
	v_fmamk_f32 v13, v49, 0xbf5db3d7, v31
	v_fmac_f32_e32 v31, 0x3f5db3d7, v49
	v_add3_u32 v34, 0, v34, v22
	v_dual_add_f32 v9, v53, v58 :: v_dual_fmac_f32 v28, 0xbf5db3d7, v52
	v_fmamk_f32 v15, v54, 0xbf5db3d7, v29
	v_fmac_f32_e32 v29, 0x3f5db3d7, v54
	ds_store_2addr_b64 v35, v[4:5], v[10:11] offset1:8
	ds_store_b64 v35, v[16:17] offset:128
	ds_store_2addr_b64 v36, v[6:7], v[12:13] offset1:8
	ds_store_b64 v36, v[30:31] offset:128
	;; [unrolled: 2-line block ×3, first 2 shown]
	s_waitcnt lgkmcnt(0)
	s_barrier
	buffer_gl0_inv
	global_load_b128 v[6:9], v24, s[8:9] offset:176
	v_lshlrev_b32_e32 v4, 4, v46
	s_clause 0x1
	global_load_b128 v[16:19], v37, s[8:9] offset:176
	global_load_b128 v[28:31], v4, s[8:9] offset:176
	v_and_b32_e32 v4, 0xffff, v38
	v_and_b32_e32 v5, 0xffff, v39
	ds_load_b64 v[12:13], v27
	v_mad_u32_u24 v27, 0x240, v44, 0
	ds_load_2addr_b64 v[32:35], v2 offset0:16 offset1:104
	v_mad_u32_u24 v44, 0x240, v4, 0
	ds_load_2addr_b64 v[36:39], v3 offset0:96 offset1:184
	v_mad_u32_u24 v47, 0x240, v5, 0
	v_lshlrev_b32_e32 v49, 3, v23
	ds_load_b64 v[10:11], v26
	ds_load_b64 v[4:5], v25
	ds_load_b64 v[23:24], v20 offset:5632
	ds_load_b64 v[14:15], v21
	v_lshlrev_b32_e32 v45, 3, v45
	v_lshlrev_b32_e32 v25, 3, v46
	v_add3_u32 v46, v47, v49, v22
	s_waitcnt vmcnt(0) lgkmcnt(0)
	s_barrier
	v_add3_u32 v26, v44, v45, v22
	v_add3_u32 v22, v27, v25, v22
	buffer_gl0_inv
	v_mul_f32_e32 v25, v7, v13
	v_mul_f32_e32 v7, v7, v12
	;; [unrolled: 1-line block ×5, first 2 shown]
	v_fma_f32 v12, v6, v12, -v25
	v_mul_f32_e32 v31, v23, v31
	v_fmac_f32_e32 v7, v6, v13
	v_fma_f32 v13, v18, v34, -v45
	v_fmac_f32_e32 v19, v18, v35
	v_fma_f32 v18, v23, v30, -v49
	v_add_f32_e32 v23, v14, v12
	v_mul_f32_e32 v27, v9, v33
	v_mul_f32_e32 v9, v9, v32
	v_dual_fmac_f32 v31, v24, v30 :: v_dual_mul_f32 v44, v17, v37
	v_mul_f32_e32 v47, v29, v39
	s_delay_alu instid0(VALU_DEP_4) | instskip(NEXT) | instid1(VALU_DEP_4)
	v_fma_f32 v6, v8, v32, -v27
	v_fmac_f32_e32 v9, v8, v33
	v_mul_f32_e32 v29, v29, v38
	v_fma_f32 v8, v16, v36, -v44
	s_delay_alu instid0(VALU_DEP_4) | instskip(NEXT) | instid1(VALU_DEP_4)
	v_dual_add_f32 v27, v15, v7 :: v_dual_add_f32 v24, v12, v6
	v_sub_f32_e32 v25, v7, v9
	s_delay_alu instid0(VALU_DEP_4) | instskip(SKIP_4) | instid1(VALU_DEP_4)
	v_fmac_f32_e32 v29, v28, v39
	v_add_f32_e32 v7, v7, v9
	v_add_f32_e32 v30, v8, v13
	v_fma_f32 v14, -0.5, v24, v14
	v_dual_mul_f32 v17, v17, v36 :: v_dual_add_f32 v44, v23, v6
	v_fmac_f32_e32 v15, -0.5, v7
	v_add_f32_e32 v45, v27, v9
	s_delay_alu instid0(VALU_DEP_3) | instskip(SKIP_3) | instid1(VALU_DEP_4)
	v_fmac_f32_e32 v17, v16, v37
	v_fma_f32 v16, v28, v38, -v47
	v_dual_sub_f32 v37, v29, v31 :: v_dual_add_f32 v38, v11, v29
	v_add_f32_e32 v29, v29, v31
	v_add_f32_e32 v34, v17, v19
	s_delay_alu instid0(VALU_DEP_4)
	v_add_f32_e32 v36, v16, v18
	v_sub_f32_e32 v28, v12, v6
	v_add_f32_e32 v12, v4, v8
	v_sub_f32_e32 v32, v17, v19
	v_add_f32_e32 v33, v5, v17
	v_dual_sub_f32 v8, v8, v13 :: v_dual_add_f32 v35, v10, v16
	v_sub_f32_e32 v39, v16, v18
	v_fma_f32 v4, -0.5, v30, v4
	v_fmac_f32_e32 v5, -0.5, v34
	v_fma_f32 v10, -0.5, v36, v10
	v_fmac_f32_e32 v11, -0.5, v29
	v_dual_add_f32 v16, v12, v13 :: v_dual_add_f32 v17, v33, v19
	v_dual_add_f32 v6, v35, v18 :: v_dual_add_f32 v7, v38, v31
	v_fmamk_f32 v12, v25, 0x3f5db3d7, v14
	v_dual_fmac_f32 v14, 0xbf5db3d7, v25 :: v_dual_fmamk_f32 v13, v28, 0xbf5db3d7, v15
	v_dual_fmac_f32 v15, 0x3f5db3d7, v28 :: v_dual_fmamk_f32 v18, v32, 0x3f5db3d7, v4
	;; [unrolled: 1-line block ×5, first 2 shown]
	v_fmac_f32_e32 v11, 0x3f5db3d7, v39
	ds_store_2addr_b64 v26, v[44:45], v[12:13] offset1:24
	ds_store_b64 v26, v[14:15] offset:384
	ds_store_2addr_b64 v46, v[16:17], v[18:19] offset1:24
	ds_store_b64 v46, v[4:5] offset:384
	;; [unrolled: 2-line block ×3, first 2 shown]
	s_waitcnt lgkmcnt(0)
	s_barrier
	buffer_gl0_inv
	s_and_saveexec_b32 s1, s0
	s_cbranch_execz .LBB0_27
; %bb.26:
	v_add_nc_u32_e32 v0, 0x400, v20
	v_add_nc_u32_e32 v1, 0xc00, v20
	ds_load_b64 v[44:45], v21
	ds_load_2addr_b64 v[12:15], v20 offset0:72 offset1:144
	ds_load_2addr_b64 v[4:7], v3 offset0:104 offset1:176
	;; [unrolled: 1-line block ×5, first 2 shown]
.LBB0_27:
	s_or_b32 exec_lo, exec_lo, s1
	v_cmp_gt_u32_e64 s1, 0x48, v48
	s_delay_alu instid0(VALU_DEP_1) | instskip(NEXT) | instid1(SALU_CYCLE_1)
	s_and_b32 s1, vcc_lo, s1
	s_and_saveexec_b32 s4, s1
	s_cbranch_execz .LBB0_29
; %bb.28:
	v_dual_mov_b32 v21, 0 :: v_dual_add_nc_u32 v20, 0xffffffb8, v48
	v_add_nc_u32_e32 v62, 0x48, v48
	v_mul_lo_u32 v49, s3, v42
	v_mul_lo_u32 v50, s2, v43
	s_delay_alu instid0(VALU_DEP_4) | instskip(SKIP_2) | instid1(VALU_DEP_3)
	v_cndmask_b32_e64 v20, v20, v48, s0
	v_mad_u64_u32 v[46:47], null, s2, v42, 0
	v_mad_u64_u32 v[42:43], null, s12, v48, 0
	v_mul_i32_i24_e32 v20, 10, v20
	v_mad_u64_u32 v[51:52], null, s12, v62, 0
	v_add_nc_u32_e32 v63, 0x90, v48
	v_add3_u32 v47, v47, v50, v49
	s_delay_alu instid0(VALU_DEP_4) | instskip(SKIP_4) | instid1(VALU_DEP_4)
	v_lshlrev_b64 v[20:21], 3, v[20:21]
	s_waitcnt lgkmcnt(5)
	v_mad_u64_u32 v[59:60], null, s13, v48, v[43:44]
	v_dual_mov_b32 v43, v52 :: v_dual_add_nc_u32 v64, 0xd8, v48
	v_mad_u64_u32 v[53:54], null, s12, v63, 0
	v_add_co_u32 v20, vcc_lo, s8, v20
	v_add_co_ci_u32_e32 v21, vcc_lo, s9, v21, vcc_lo
	s_delay_alu instid0(VALU_DEP_4)
	v_mad_u64_u32 v[60:61], null, s13, v62, v[43:44]
	v_mov_b32_e32 v43, v59
	s_clause 0x4
	global_load_b128 v[24:27], v[20:21], off offset:624
	global_load_b128 v[36:39], v[20:21], off offset:560
	;; [unrolled: 1-line block ×5, first 2 shown]
	v_mad_u64_u32 v[55:56], null, s12, v64, 0
	v_dual_mov_b32 v52, v54 :: v_dual_add_nc_u32 v65, 0x120, v48
	v_lshlrev_b64 v[46:47], 3, v[46:47]
	v_lshlrev_b64 v[40:41], 3, v[40:41]
	v_add_nc_u32_e32 v66, 0x168, v48
	v_lshlrev_b64 v[42:43], 3, v[42:43]
	v_mov_b32_e32 v54, v56
	v_mad_u64_u32 v[57:58], null, s12, v65, 0
	v_mad_u64_u32 v[61:62], null, s13, v63, v[52:53]
	s_delay_alu instid0(VALU_DEP_3) | instskip(SKIP_1) | instid1(VALU_DEP_4)
	v_mad_u64_u32 v[62:63], null, s13, v64, v[54:55]
	v_add_co_u32 v46, vcc_lo, s6, v46
	v_mov_b32_e32 v56, v58
	v_add_co_ci_u32_e32 v47, vcc_lo, s7, v47, vcc_lo
	v_mov_b32_e32 v52, v60
	v_mov_b32_e32 v54, v61
	v_add_co_u32 v59, vcc_lo, v46, v40
	s_delay_alu instid0(VALU_DEP_4) | instskip(NEXT) | instid1(VALU_DEP_4)
	v_add_co_ci_u32_e32 v60, vcc_lo, v47, v41, vcc_lo
	v_lshlrev_b64 v[40:41], 3, v[51:52]
	s_delay_alu instid0(VALU_DEP_4) | instskip(NEXT) | instid1(VALU_DEP_4)
	v_lshlrev_b64 v[46:47], 3, v[53:54]
	v_add_co_u32 v42, vcc_lo, v59, v42
	s_delay_alu instid0(VALU_DEP_4) | instskip(NEXT) | instid1(VALU_DEP_4)
	v_add_co_ci_u32_e32 v43, vcc_lo, v60, v43, vcc_lo
	v_add_co_u32 v40, vcc_lo, v59, v40
	v_add_co_ci_u32_e32 v41, vcc_lo, v60, v41, vcc_lo
	s_waitcnt vmcnt(3) lgkmcnt(0)
	v_dual_mul_f32 v51, v3, v26 :: v_dual_mul_f32 v52, v13, v36
	v_mul_f32_e32 v13, v13, v37
	v_mad_u64_u32 v[63:64], null, s13, v65, v[56:57]
	v_dual_mov_b32 v56, v62 :: v_dual_mul_f32 v53, v1, v24
	v_mul_f32_e32 v3, v3, v27
	v_dual_mul_f32 v54, v15, v38 :: v_dual_mul_f32 v1, v1, v25
	v_mul_f32_e32 v15, v15, v39
	s_waitcnt vmcnt(1)
	v_dual_mul_f32 v58, v11, v30 :: v_dual_mul_f32 v61, v17, v32
	v_dual_mul_f32 v17, v17, v33 :: v_dual_mul_f32 v64, v19, v34
	;; [unrolled: 1-line block ×3, first 2 shown]
	v_dual_mul_f32 v9, v9, v29 :: v_dual_fmac_f32 v54, v14, v39
	v_mul_f32_e32 v11, v11, v31
	s_waitcnt vmcnt(0)
	v_dual_mul_f32 v65, v7, v22 :: v_dual_fmac_f32 v52, v12, v37
	v_dual_mul_f32 v67, v5, v20 :: v_dual_fmac_f32 v58, v10, v31
	;; [unrolled: 1-line block ×4, first 2 shown]
	v_fma_f32 v26, v2, v26, -v3
	v_fmac_f32_e32 v53, v0, v25
	v_fmac_f32_e32 v51, v2, v27
	v_fma_f32 v2, v14, v38, -v15
	v_fma_f32 v14, v0, v24, -v1
	v_fma_f32 v1, v18, v34, -v19
	v_fma_f32 v3, v8, v28, -v9
	v_dual_add_f32 v8, v53, v54 :: v_dual_fmac_f32 v61, v16, v33
	v_fma_f32 v0, v16, v32, -v17
	v_fma_f32 v12, v12, v36, -v13
	s_delay_alu instid0(VALU_DEP_4) | instskip(NEXT) | instid1(VALU_DEP_4)
	v_dual_sub_f32 v16, v1, v3 :: v_dual_fmac_f32 v67, v4, v21
	v_sub_f32_e32 v24, v61, v58
	v_fma_f32 v4, v4, v20, -v5
	v_fma_f32 v5, v6, v22, -v7
	v_fmac_f32_e32 v65, v6, v23
	v_dual_sub_f32 v9, v2, v14 :: v_dual_sub_f32 v20, v52, v51
	v_fma_f32 v10, v10, v30, -v11
	s_delay_alu instid0(VALU_DEP_3) | instskip(SKIP_3) | instid1(VALU_DEP_4)
	v_dual_sub_f32 v18, v4, v5 :: v_dual_add_f32 v17, v65, v67
	v_mul_f32_e32 v32, 0xbf75a155, v8
	v_dual_add_f32 v6, v51, v52 :: v_dual_sub_f32 v7, v12, v26
	v_sub_f32_e32 v22, v54, v53
	v_dual_add_f32 v15, v62, v64 :: v_dual_mul_f32 v68, 0xbe11bafb, v17
	v_add_f32_e32 v19, v26, v12
	v_dual_mul_f32 v69, 0xbe903f40, v20 :: v_dual_mul_f32 v86, 0xbe903f40, v18
	s_delay_alu instid0(VALU_DEP_3) | instskip(SKIP_2) | instid1(VALU_DEP_4)
	v_dual_add_f32 v21, v45, v52 :: v_dual_mul_f32 v52, 0x3ed4b147, v15
	v_dual_add_f32 v25, v10, v0 :: v_dual_mul_f32 v70, 0xbf4178ce, v7
	v_mul_f32_e32 v34, 0x3f575c64, v15
	v_fmamk_f32 v111, v19, 0xbf75a155, v69
	v_fma_f32 v69, 0xbf75a155, v19, -v69
	v_dual_mul_f32 v92, 0x3e903f40, v24 :: v_dual_sub_f32 v13, v0, v10
	v_dual_add_f32 v28, v3, v1 :: v_dual_add_f32 v23, v14, v2
	v_dual_add_f32 v30, v5, v4 :: v_dual_sub_f32 v27, v64, v62
	v_dual_mul_f32 v36, 0xbf7d64f0, v20 :: v_dual_sub_f32 v29, v67, v65
	v_mul_f32_e32 v38, 0x3f575c64, v8
	v_dual_mul_f32 v75, 0xbf4178ce, v20 :: v_dual_mul_f32 v88, 0xbf4178ce, v22
	v_dual_mul_f32 v76, 0xbf68dda4, v7 :: v_dual_add_f32 v21, v21, v54
	v_add_f32_e32 v69, v44, v69
	v_fma_f32 v125, 0xbf75a155, v25, -v92
	v_fmac_f32_e32 v92, 0xbf75a155, v25
	v_dual_mul_f32 v54, 0x3e903f40, v22 :: v_dual_add_f32 v11, v58, v61
	v_dual_add_f32 v12, v44, v12 :: v_dual_mul_f32 v31, 0xbe11bafb, v6
	v_fmamk_f32 v106, v19, 0xbe11bafb, v36
	v_dual_mul_f32 v37, 0xbf75a155, v6 :: v_dual_fmamk_f32 v120, v17, 0xbf75a155, v86
	v_dual_mul_f32 v71, 0x3f7d64f0, v9 :: v_dual_mul_f32 v96, 0x3f7d64f0, v27
	v_dual_mul_f32 v72, 0xbf0a6770, v13 :: v_dual_mul_f32 v81, 0xbf0a6770, v7
	v_dual_mul_f32 v73, 0xbe903f40, v16 :: v_dual_fmamk_f32 v102, v9, 0xbe903f40, v32
	v_dual_mul_f32 v77, 0xbf4178ce, v9 :: v_dual_mul_f32 v84, 0xbf4178ce, v16
	v_mul_f32_e32 v82, 0xbf68dda4, v9
	v_dual_mul_f32 v91, 0xbf0a6770, v24 :: v_dual_fmamk_f32 v108, v9, 0xbf0a6770, v38
	v_fmac_f32_e32 v38, 0x3f0a6770, v9
	v_fma_f32 v116, 0xbf27a4f4, v19, -v75
	v_fmac_f32_e32 v75, 0xbf27a4f4, v19
	v_fmac_f32_e32 v32, 0x3e903f40, v9
	v_fmamk_f32 v121, v23, 0xbf75a155, v54
	v_fmamk_f32 v9, v6, 0x3ed4b147, v76
	v_fma_f32 v76, 0x3ed4b147, v6, -v76
	v_dual_mul_f32 v33, 0x3ed4b147, v11 :: v_dual_add_f32 v2, v12, v2
	v_dual_mul_f32 v35, 0xbf27a4f4, v17 :: v_dual_fmamk_f32 v112, v6, 0xbf27a4f4, v70
	v_mul_f32_e32 v39, 0xbf27a4f4, v11
	v_dual_mul_f32 v74, 0x3f68dda4, v18 :: v_dual_mul_f32 v99, 0x3f68dda4, v29
	v_dual_mul_f32 v78, 0x3e903f40, v13 :: v_dual_fmamk_f32 v107, v7, 0x3e903f40, v37
	v_mul_f32_e32 v79, 0x3f7d64f0, v16
	v_dual_mul_f32 v80, 0xbf68dda4, v20 :: v_dual_fmamk_f32 v103, v13, 0xbf68dda4, v33
	v_mul_f32_e32 v83, 0xbf7d64f0, v13
	v_dual_mul_f32 v20, 0xbf0a6770, v20 :: v_dual_mul_f32 v93, 0xbf0a6770, v27
	v_dual_mul_f32 v85, 0x3f0a6770, v18 :: v_dual_mul_f32 v100, 0x3f0a6770, v29
	v_dual_mul_f32 v12, 0x3f0a6770, v22 :: v_dual_add_f32 v21, v21, v61
	v_mul_f32_e32 v89, 0xbf4178ce, v24
	v_dual_mul_f32 v90, 0x3f68dda4, v24 :: v_dual_fmac_f32 v33, 0x3f68dda4, v13
	v_mul_f32_e32 v24, 0xbf7d64f0, v24
	v_mul_f32_e32 v98, 0xbf7d64f0, v29
	v_dual_fmamk_f32 v101, v7, 0x3f7d64f0, v31 :: v_dual_add_f32 v76, v45, v76
	v_mul_f32_e32 v87, 0x3f7d64f0, v22
	v_fmac_f32_e32 v37, 0xbe903f40, v7
	v_fmac_f32_e32 v31, 0xbf7d64f0, v7
	v_fma_f32 v7, 0xbe11bafb, v19, -v36
	v_fmamk_f32 v36, v6, 0x3f575c64, v81
	v_fma_f32 v70, 0xbf27a4f4, v6, -v70
	v_fma_f32 v6, 0x3f575c64, v6, -v81
	v_mul_f32_e32 v94, 0x3f68dda4, v27
	v_mul_f32_e32 v95, 0xbe903f40, v27
	v_dual_fmamk_f32 v104, v16, 0x3f0a6770, v34 :: v_dual_add_f32 v31, v45, v31
	v_fmamk_f32 v110, v16, 0xbf68dda4, v52
	v_fmamk_f32 v113, v8, 0xbe11bafb, v71
	v_dual_fmamk_f32 v114, v11, 0x3f575c64, v72 :: v_dual_fmamk_f32 v119, v17, 0x3f575c64, v85
	v_fmac_f32_e32 v34, 0xbf0a6770, v16
	v_fma_f32 v81, 0x3f575c64, v19, -v20
	v_fmac_f32_e32 v52, 0x3f68dda4, v16
	v_fma_f32 v16, 0x3ed4b147, v19, -v80
	v_mul_f32_e32 v27, 0xbf4178ce, v27
	v_fmac_f32_e32 v80, 0x3ed4b147, v19
	v_fmac_f32_e32 v20, 0x3f575c64, v19
	v_fmamk_f32 v117, v15, 0xbe11bafb, v79
	v_dual_fmamk_f32 v118, v8, 0x3ed4b147, v82 :: v_dual_add_f32 v21, v21, v64
	v_fmamk_f32 v19, v11, 0xbf75a155, v78
	v_fma_f32 v71, 0xbe11bafb, v8, -v71
	v_fma_f32 v72, 0x3f575c64, v11, -v72
	;; [unrolled: 1-line block ×7, first 2 shown]
	v_dual_add_f32 v0, v2, v0 :: v_dual_fmamk_f32 v109, v13, 0x3f4178ce, v39
	v_fmac_f32_e32 v39, 0xbf4178ce, v13
	v_fmamk_f32 v115, v15, 0xbf75a155, v73
	v_fmamk_f32 v13, v8, 0xbf27a4f4, v77
	v_fma_f32 v77, 0xbf27a4f4, v8, -v77
	v_fma_f32 v8, 0x3ed4b147, v8, -v82
	;; [unrolled: 1-line block ×4, first 2 shown]
	v_fmac_f32_e32 v24, 0xbe11bafb, v25
	v_fma_f32 v132, 0x3ed4b147, v30, -v99
	v_fmac_f32_e32 v99, 0x3ed4b147, v30
	v_dual_fmamk_f32 v105, v18, 0x3f4178ce, v35 :: v_dual_add_f32 v80, v44, v80
	v_fmac_f32_e32 v35, 0xbf4178ce, v18
	v_dual_add_f32 v7, v44, v7 :: v_dual_add_f32 v6, v45, v6
	v_dual_mul_f32 v22, 0xbf68dda4, v22 :: v_dual_add_f32 v37, v45, v37
	v_fmamk_f32 v82, v11, 0xbe11bafb, v83
	v_fma_f32 v11, 0xbe11bafb, v11, -v83
	v_dual_fmamk_f32 v83, v15, 0xbf27a4f4, v84 :: v_dual_fmamk_f32 v2, v25, 0xbf27a4f4, v89
	v_fma_f32 v15, 0xbf27a4f4, v15, -v84
	v_fmamk_f32 v84, v18, 0x3f7d64f0, v68
	v_fmac_f32_e32 v68, 0xbf7d64f0, v18
	v_fmamk_f32 v18, v17, 0x3ed4b147, v74
	v_fma_f32 v74, 0x3ed4b147, v17, -v74
	v_fmamk_f32 v17, v23, 0x3f575c64, v12
	v_dual_mul_f32 v97, 0xbf4178ce, v29 :: v_dual_add_f32 v36, v45, v36
	v_dual_mul_f32 v29, 0xbe903f40, v29 :: v_dual_add_f32 v70, v45, v70
	v_fma_f32 v12, 0x3f575c64, v23, -v12
	v_fma_f32 v54, 0xbf75a155, v23, -v54
	v_fmac_f32_e32 v87, 0xbe11bafb, v23
	v_fma_f32 v123, 0xbf27a4f4, v23, -v88
	v_fmac_f32_e32 v88, 0xbf27a4f4, v23
	v_fma_f32 v124, 0x3ed4b147, v23, -v22
	v_fmamk_f32 v127, v28, 0x3f575c64, v93
	v_fma_f32 v93, 0x3f575c64, v28, -v93
	v_fma_f32 v128, 0xbf75a155, v28, -v95
	;; [unrolled: 1-line block ×3, first 2 shown]
	v_fmac_f32_e32 v96, 0xbe11bafb, v28
	v_dual_fmamk_f32 v131, v30, 0xbf27a4f4, v97 :: v_dual_add_f32 v64, v80, v88
	v_fma_f32 v97, 0xbf27a4f4, v30, -v97
	v_fma_f32 v133, 0x3f575c64, v30, -v100
	v_fmac_f32_e32 v100, 0x3f575c64, v30
	v_fma_f32 v134, 0xbf75a155, v30, -v29
	v_dual_fmac_f32 v29, 0xbf75a155, v30 :: v_dual_add_f32 v6, v6, v8
	v_add_f32_e32 v16, v44, v16
	v_fma_f32 v130, 0xbf27a4f4, v28, -v27
	v_fmac_f32_e32 v27, 0xbf27a4f4, v28
	v_add_f32_e32 v81, v44, v81
	v_dual_add_f32 v0, v0, v1 :: v_dual_fmamk_f32 v61, v25, 0x3ed4b147, v90
	v_dual_add_f32 v12, v69, v12 :: v_dual_add_f32 v75, v44, v75
	v_dual_fmac_f32 v22, 0x3ed4b147, v23 :: v_dual_add_f32 v31, v31, v32
	v_fma_f32 v23, 0xbf27a4f4, v25, -v89
	v_fma_f32 v89, 0x3ed4b147, v25, -v90
	;; [unrolled: 1-line block ×3, first 2 shown]
	v_fmac_f32_e32 v91, 0x3f575c64, v25
	v_fmamk_f32 v25, v28, 0x3ed4b147, v94
	v_fma_f32 v94, 0x3ed4b147, v28, -v94
	v_fmac_f32_e32 v95, 0xbf75a155, v28
	v_fmamk_f32 v28, v30, 0xbe11bafb, v98
	v_fma_f32 v98, 0xbe11bafb, v30, -v98
	v_dual_add_f32 v30, v45, v101 :: v_dual_add_f32 v101, v44, v106
	v_add_f32_e32 v106, v45, v107
	v_add_f32_e32 v107, v44, v111
	;; [unrolled: 1-line block ×4, first 2 shown]
	v_dual_add_f32 v20, v44, v20 :: v_dual_add_f32 v1, v30, v102
	v_add_f32_e32 v44, v106, v108
	v_add_f32_e32 v32, v81, v124
	v_add_f32_e32 v30, v101, v121
	v_add_f32_e32 v9, v45, v9
	v_add_f32_e32 v45, v112, v122
	v_dual_add_f32 v21, v21, v67 :: v_dual_add_f32 v0, v0, v4
	v_add_f32_e32 v7, v7, v54
	v_add_f32_e32 v17, v107, v17
	v_dual_add_f32 v37, v37, v38 :: v_dual_add_f32 v38, v111, v113
	v_dual_add_f32 v9, v9, v13 :: v_dual_add_f32 v8, v20, v22
	s_delay_alu instid0(VALU_DEP_3) | instskip(SKIP_4) | instid1(VALU_DEP_4)
	v_dual_add_f32 v13, v16, v123 :: v_dual_add_f32 v2, v17, v2
	v_add_f32_e32 v16, v36, v118
	v_add_f32_e32 v4, v70, v71
	v_dual_add_f32 v1, v1, v103 :: v_dual_add_f32 v20, v30, v61
	v_add_f32_e32 v22, v44, v109
	v_add_f32_e32 v16, v16, v82
	v_dual_add_f32 v12, v12, v23 :: v_dual_add_f32 v23, v38, v114
	v_dual_add_f32 v30, v45, v90 :: v_dual_add_f32 v31, v31, v33
	;; [unrolled: 1-line block ×4, first 2 shown]
	v_add_f32_e32 v36, v75, v87
	v_dual_add_f32 v54, v76, v77 :: v_dual_add_f32 v17, v37, v39
	v_dual_add_f32 v4, v4, v72 :: v_dual_add_f32 v9, v9, v19
	;; [unrolled: 1-line block ×4, first 2 shown]
	v_add_f32_e32 v33, v64, v92
	v_dual_add_f32 v1, v1, v104 :: v_dual_add_f32 v12, v12, v94
	v_dual_add_f32 v11, v20, v127 :: v_dual_add_f32 v24, v31, v34
	v_add_f32_e32 v21, v62, v21
	v_add_f32_e32 v31, v3, v0
	v_dual_add_f32 v5, v36, v91 :: v_dual_add_f32 v20, v22, v110
	v_dual_add_f32 v32, v54, v78 :: v_dual_add_f32 v17, v17, v52
	v_add_f32_e32 v16, v16, v83
	v_dual_add_f32 v22, v23, v115 :: v_dual_add_f32 v23, v30, v128
	v_add_f32_e32 v30, v9, v117
	s_delay_alu instid0(VALU_DEP_4) | instskip(SKIP_1) | instid1(VALU_DEP_4)
	v_dual_add_f32 v13, v13, v129 :: v_dual_add_f32 v32, v32, v79
	v_dual_add_f32 v19, v19, v130 :: v_dual_add_f32 v34, v4, v73
	v_dual_add_f32 v37, v6, v15 :: v_dual_add_f32 v6, v23, v132
	v_dual_add_f32 v0, v11, v131 :: v_dual_add_f32 v33, v33, v96
	v_add_f32_e32 v4, v12, v98
	v_add_f32_e32 v12, v58, v21
	;; [unrolled: 1-line block ×3, first 2 shown]
	v_dual_add_f32 v25, v7, v93 :: v_dual_add_f32 v36, v5, v95
	v_add_f32_e32 v1, v1, v105
	v_dual_add_f32 v7, v22, v18 :: v_dual_add_f32 v10, v13, v133
	v_add_f32_e32 v9, v24, v35
	;; [unrolled: 2-line block ×3, first 2 shown]
	v_mad_u64_u32 v[49:50], null, s12, v66, 0
	v_dual_add_f32 v5, v17, v68 :: v_dual_add_f32 v12, v19, v134
	s_delay_alu instid0(VALU_DEP_3)
	v_dual_add_f32 v17, v51, v16 :: v_dual_add_f32 v16, v26, v18
	v_dual_add_f32 v27, v8, v27 :: v_dual_add_f32 v2, v2, v28
	v_add_f32_e32 v11, v30, v119
	v_dual_add_f32 v19, v32, v85 :: v_dual_mov_b32 v58, v63
	global_store_b64 v[42:43], v[16:17], off
	v_add_co_u32 v16, vcc_lo, v59, v46
	v_add_co_ci_u32_e32 v17, vcc_lo, v60, v47, vcc_lo
	global_store_b64 v[40:41], v[12:13], off
	v_mov_b32_e32 v12, v50
	v_lshlrev_b64 v[22:23], 3, v[55:56]
	v_dual_add_f32 v3, v20, v84 :: v_dual_add_f32 v8, v25, v97
	v_add_f32_e32 v20, v27, v29
	global_store_b64 v[16:17], v[10:11], off
	v_lshlrev_b64 v[10:11], 3, v[57:58]
	v_mad_u64_u32 v[16:17], null, s13, v66, v[12:13]
	v_dual_add_f32 v21, v37, v86 :: v_dual_add_nc_u32 v24, 0x1b0, v48
	v_add_co_u32 v12, vcc_lo, v59, v22
	v_add_co_ci_u32_e32 v13, vcc_lo, v60, v23, vcc_lo
	v_add_co_u32 v10, vcc_lo, v59, v10
	v_add_co_ci_u32_e32 v11, vcc_lo, v60, v11, vcc_lo
	v_mov_b32_e32 v50, v16
	v_mad_u64_u32 v[16:17], null, s12, v24, 0
	v_add_nc_u32_e32 v26, 0x240, v48
	global_store_b64 v[12:13], v[8:9], off
	v_add_nc_u32_e32 v13, 0x1f8, v48
	global_store_b64 v[10:11], v[6:7], off
	v_lshlrev_b64 v[6:7], 3, v[49:50]
	v_mad_u64_u32 v[11:12], null, s12, v26, 0
	v_mov_b32_e32 v10, v17
	v_mad_u64_u32 v[8:9], null, s12, v13, 0
	s_delay_alu instid0(VALU_DEP_4) | instskip(SKIP_1) | instid1(VALU_DEP_4)
	v_add_co_u32 v6, vcc_lo, v59, v6
	v_add_co_ci_u32_e32 v7, vcc_lo, v60, v7, vcc_lo
	v_mad_u64_u32 v[22:23], null, s13, v24, v[10:11]
	v_add_nc_u32_e32 v10, 0x288, v48
	global_store_b64 v[6:7], v[4:5], off
	v_dual_add_f32 v15, v34, v74 :: v_dual_add_f32 v14, v36, v99
	v_add_f32_e32 v18, v33, v100
	v_mad_u64_u32 v[23:24], null, s13, v13, v[9:10]
	v_mov_b32_e32 v9, v12
	v_mov_b32_e32 v17, v22
	s_delay_alu instid0(VALU_DEP_2) | instskip(NEXT) | instid1(VALU_DEP_4)
	v_mad_u64_u32 v[12:13], null, s13, v26, v[9:10]
	v_mov_b32_e32 v9, v23
	v_mad_u64_u32 v[24:25], null, s12, v10, 0
	s_delay_alu instid0(VALU_DEP_4) | instskip(NEXT) | instid1(VALU_DEP_3)
	v_lshlrev_b64 v[5:6], 3, v[16:17]
	v_lshlrev_b64 v[7:8], 3, v[8:9]
	s_delay_alu instid0(VALU_DEP_3) | instskip(NEXT) | instid1(VALU_DEP_1)
	v_mov_b32_e32 v4, v25
	v_mad_u64_u32 v[16:17], null, s13, v10, v[4:5]
	v_add_nc_u32_e32 v28, 0x2d0, v48
	v_add_co_u32 v5, vcc_lo, v59, v5
	v_add_co_ci_u32_e32 v6, vcc_lo, v60, v6, vcc_lo
	v_add_co_u32 v7, vcc_lo, v59, v7
	v_mov_b32_e32 v25, v16
	v_mad_u64_u32 v[26:27], null, s12, v28, 0
	v_add_co_ci_u32_e32 v8, vcc_lo, v60, v8, vcc_lo
	s_delay_alu instid0(VALU_DEP_2) | instskip(NEXT) | instid1(VALU_DEP_1)
	v_mov_b32_e32 v4, v27
	v_mad_u64_u32 v[9:10], null, s13, v28, v[4:5]
	v_lshlrev_b64 v[10:11], 3, v[11:12]
	v_lshlrev_b64 v[12:13], 3, v[24:25]
	s_delay_alu instid0(VALU_DEP_3) | instskip(NEXT) | instid1(VALU_DEP_3)
	v_mov_b32_e32 v27, v9
	v_add_co_u32 v9, vcc_lo, v59, v10
	s_delay_alu instid0(VALU_DEP_4) | instskip(NEXT) | instid1(VALU_DEP_3)
	v_add_co_ci_u32_e32 v10, vcc_lo, v60, v11, vcc_lo
	v_lshlrev_b64 v[16:17], 3, v[26:27]
	v_add_co_u32 v11, vcc_lo, v59, v12
	v_add_co_ci_u32_e32 v12, vcc_lo, v60, v13, vcc_lo
	s_delay_alu instid0(VALU_DEP_3) | instskip(NEXT) | instid1(VALU_DEP_4)
	v_add_co_u32 v16, vcc_lo, v59, v16
	v_add_co_ci_u32_e32 v17, vcc_lo, v60, v17, vcc_lo
	s_clause 0x4
	global_store_b64 v[5:6], v[2:3], off
	global_store_b64 v[7:8], v[14:15], off
	;; [unrolled: 1-line block ×5, first 2 shown]
.LBB0_29:
	s_nop 0
	s_sendmsg sendmsg(MSG_DEALLOC_VGPRS)
	s_endpgm
	.section	.rodata,"a",@progbits
	.p2align	6, 0x0
	.amdhsa_kernel fft_rtc_fwd_len792_factors_2_2_2_3_3_11_wgs_176_tpt_88_sp_op_CI_CI_sbrr_dirReg
		.amdhsa_group_segment_fixed_size 0
		.amdhsa_private_segment_fixed_size 0
		.amdhsa_kernarg_size 104
		.amdhsa_user_sgpr_count 15
		.amdhsa_user_sgpr_dispatch_ptr 0
		.amdhsa_user_sgpr_queue_ptr 0
		.amdhsa_user_sgpr_kernarg_segment_ptr 1
		.amdhsa_user_sgpr_dispatch_id 0
		.amdhsa_user_sgpr_private_segment_size 0
		.amdhsa_wavefront_size32 1
		.amdhsa_uses_dynamic_stack 0
		.amdhsa_enable_private_segment 0
		.amdhsa_system_sgpr_workgroup_id_x 1
		.amdhsa_system_sgpr_workgroup_id_y 0
		.amdhsa_system_sgpr_workgroup_id_z 0
		.amdhsa_system_sgpr_workgroup_info 0
		.amdhsa_system_vgpr_workitem_id 0
		.amdhsa_next_free_vgpr 135
		.amdhsa_next_free_sgpr 31
		.amdhsa_reserve_vcc 1
		.amdhsa_float_round_mode_32 0
		.amdhsa_float_round_mode_16_64 0
		.amdhsa_float_denorm_mode_32 3
		.amdhsa_float_denorm_mode_16_64 3
		.amdhsa_dx10_clamp 1
		.amdhsa_ieee_mode 1
		.amdhsa_fp16_overflow 0
		.amdhsa_workgroup_processor_mode 1
		.amdhsa_memory_ordered 1
		.amdhsa_forward_progress 0
		.amdhsa_shared_vgpr_count 0
		.amdhsa_exception_fp_ieee_invalid_op 0
		.amdhsa_exception_fp_denorm_src 0
		.amdhsa_exception_fp_ieee_div_zero 0
		.amdhsa_exception_fp_ieee_overflow 0
		.amdhsa_exception_fp_ieee_underflow 0
		.amdhsa_exception_fp_ieee_inexact 0
		.amdhsa_exception_int_div_zero 0
	.end_amdhsa_kernel
	.text
.Lfunc_end0:
	.size	fft_rtc_fwd_len792_factors_2_2_2_3_3_11_wgs_176_tpt_88_sp_op_CI_CI_sbrr_dirReg, .Lfunc_end0-fft_rtc_fwd_len792_factors_2_2_2_3_3_11_wgs_176_tpt_88_sp_op_CI_CI_sbrr_dirReg
                                        ; -- End function
	.section	.AMDGPU.csdata,"",@progbits
; Kernel info:
; codeLenInByte = 8232
; NumSgprs: 33
; NumVgprs: 135
; ScratchSize: 0
; MemoryBound: 0
; FloatMode: 240
; IeeeMode: 1
; LDSByteSize: 0 bytes/workgroup (compile time only)
; SGPRBlocks: 4
; VGPRBlocks: 16
; NumSGPRsForWavesPerEU: 33
; NumVGPRsForWavesPerEU: 135
; Occupancy: 10
; WaveLimiterHint : 1
; COMPUTE_PGM_RSRC2:SCRATCH_EN: 0
; COMPUTE_PGM_RSRC2:USER_SGPR: 15
; COMPUTE_PGM_RSRC2:TRAP_HANDLER: 0
; COMPUTE_PGM_RSRC2:TGID_X_EN: 1
; COMPUTE_PGM_RSRC2:TGID_Y_EN: 0
; COMPUTE_PGM_RSRC2:TGID_Z_EN: 0
; COMPUTE_PGM_RSRC2:TIDIG_COMP_CNT: 0
	.text
	.p2alignl 7, 3214868480
	.fill 96, 4, 3214868480
	.type	__hip_cuid_9be8daa9416b69e6,@object ; @__hip_cuid_9be8daa9416b69e6
	.section	.bss,"aw",@nobits
	.globl	__hip_cuid_9be8daa9416b69e6
__hip_cuid_9be8daa9416b69e6:
	.byte	0                               ; 0x0
	.size	__hip_cuid_9be8daa9416b69e6, 1

	.ident	"AMD clang version 19.0.0git (https://github.com/RadeonOpenCompute/llvm-project roc-6.4.0 25133 c7fe45cf4b819c5991fe208aaa96edf142730f1d)"
	.section	".note.GNU-stack","",@progbits
	.addrsig
	.addrsig_sym __hip_cuid_9be8daa9416b69e6
	.amdgpu_metadata
---
amdhsa.kernels:
  - .args:
      - .actual_access:  read_only
        .address_space:  global
        .offset:         0
        .size:           8
        .value_kind:     global_buffer
      - .offset:         8
        .size:           8
        .value_kind:     by_value
      - .actual_access:  read_only
        .address_space:  global
        .offset:         16
        .size:           8
        .value_kind:     global_buffer
      - .actual_access:  read_only
        .address_space:  global
        .offset:         24
        .size:           8
        .value_kind:     global_buffer
      - .actual_access:  read_only
        .address_space:  global
        .offset:         32
        .size:           8
        .value_kind:     global_buffer
      - .offset:         40
        .size:           8
        .value_kind:     by_value
      - .actual_access:  read_only
        .address_space:  global
        .offset:         48
        .size:           8
        .value_kind:     global_buffer
      - .actual_access:  read_only
        .address_space:  global
        .offset:         56
        .size:           8
        .value_kind:     global_buffer
      - .offset:         64
        .size:           4
        .value_kind:     by_value
      - .actual_access:  read_only
        .address_space:  global
        .offset:         72
        .size:           8
        .value_kind:     global_buffer
      - .actual_access:  read_only
        .address_space:  global
        .offset:         80
        .size:           8
        .value_kind:     global_buffer
      - .actual_access:  read_only
        .address_space:  global
        .offset:         88
        .size:           8
        .value_kind:     global_buffer
      - .actual_access:  write_only
        .address_space:  global
        .offset:         96
        .size:           8
        .value_kind:     global_buffer
    .group_segment_fixed_size: 0
    .kernarg_segment_align: 8
    .kernarg_segment_size: 104
    .language:       OpenCL C
    .language_version:
      - 2
      - 0
    .max_flat_workgroup_size: 176
    .name:           fft_rtc_fwd_len792_factors_2_2_2_3_3_11_wgs_176_tpt_88_sp_op_CI_CI_sbrr_dirReg
    .private_segment_fixed_size: 0
    .sgpr_count:     33
    .sgpr_spill_count: 0
    .symbol:         fft_rtc_fwd_len792_factors_2_2_2_3_3_11_wgs_176_tpt_88_sp_op_CI_CI_sbrr_dirReg.kd
    .uniform_work_group_size: 1
    .uses_dynamic_stack: false
    .vgpr_count:     135
    .vgpr_spill_count: 0
    .wavefront_size: 32
    .workgroup_processor_mode: 1
amdhsa.target:   amdgcn-amd-amdhsa--gfx1100
amdhsa.version:
  - 1
  - 2
...

	.end_amdgpu_metadata
